;; amdgpu-corpus repo=ROCm/rocFFT kind=compiled arch=gfx906 opt=O3
	.text
	.amdgcn_target "amdgcn-amd-amdhsa--gfx906"
	.amdhsa_code_object_version 6
	.protected	fft_rtc_back_len242_factors_11_2_11_wgs_110_tpt_22_half_op_CI_CI_unitstride_sbrr_C2R_dirReg ; -- Begin function fft_rtc_back_len242_factors_11_2_11_wgs_110_tpt_22_half_op_CI_CI_unitstride_sbrr_C2R_dirReg
	.globl	fft_rtc_back_len242_factors_11_2_11_wgs_110_tpt_22_half_op_CI_CI_unitstride_sbrr_C2R_dirReg
	.p2align	8
	.type	fft_rtc_back_len242_factors_11_2_11_wgs_110_tpt_22_half_op_CI_CI_unitstride_sbrr_C2R_dirReg,@function
fft_rtc_back_len242_factors_11_2_11_wgs_110_tpt_22_half_op_CI_CI_unitstride_sbrr_C2R_dirReg: ; @fft_rtc_back_len242_factors_11_2_11_wgs_110_tpt_22_half_op_CI_CI_unitstride_sbrr_C2R_dirReg
; %bb.0:
	v_mul_u32_u24_e32 v1, 0xba3, v0
	s_load_dwordx4 s[8:11], s[4:5], 0x58
	s_load_dwordx4 s[12:15], s[4:5], 0x0
	;; [unrolled: 1-line block ×3, first 2 shown]
	v_lshrrev_b32_e32 v1, 16, v1
	v_mad_u64_u32 v[8:9], s[0:1], s6, 5, v[1:2]
	v_mov_b32_e32 v10, 0
	s_waitcnt lgkmcnt(0)
	v_cmp_lt_u64_e64 s[0:1], s[14:15], 2
	v_mov_b32_e32 v6, 0
	v_mov_b32_e32 v9, v10
	;; [unrolled: 1-line block ×5, first 2 shown]
	s_and_b64 vcc, exec, s[0:1]
	v_mov_b32_e32 v2, v7
	v_mov_b32_e32 v4, v9
	s_cbranch_vccnz .LBB0_8
; %bb.1:
	s_load_dwordx2 s[0:1], s[4:5], 0x10
	s_add_u32 s2, s18, 8
	s_addc_u32 s3, s19, 0
	s_add_u32 s6, s16, 8
	s_addc_u32 s7, s17, 0
	v_mov_b32_e32 v6, 0
	s_waitcnt lgkmcnt(0)
	s_add_u32 s20, s0, 8
	v_mov_b32_e32 v7, 0
	v_mov_b32_e32 v1, v6
	;; [unrolled: 1-line block ×3, first 2 shown]
	s_addc_u32 s21, s1, 0
	s_mov_b64 s[22:23], 1
	v_mov_b32_e32 v2, v7
	v_mov_b32_e32 v12, v8
.LBB0_2:                                ; =>This Inner Loop Header: Depth=1
	s_load_dwordx2 s[24:25], s[20:21], 0x0
                                        ; implicit-def: $vgpr3_vgpr4
	s_waitcnt lgkmcnt(0)
	v_or_b32_e32 v11, s25, v13
	v_cmp_ne_u64_e32 vcc, 0, v[10:11]
	s_and_saveexec_b64 s[0:1], vcc
	s_xor_b64 s[26:27], exec, s[0:1]
	s_cbranch_execz .LBB0_4
; %bb.3:                                ;   in Loop: Header=BB0_2 Depth=1
	v_cvt_f32_u32_e32 v3, s24
	v_cvt_f32_u32_e32 v4, s25
	s_sub_u32 s0, 0, s24
	s_subb_u32 s1, 0, s25
	v_mac_f32_e32 v3, 0x4f800000, v4
	v_rcp_f32_e32 v3, v3
	v_mul_f32_e32 v3, 0x5f7ffffc, v3
	v_mul_f32_e32 v4, 0x2f800000, v3
	v_trunc_f32_e32 v4, v4
	v_mac_f32_e32 v3, 0xcf800000, v4
	v_cvt_u32_f32_e32 v4, v4
	v_cvt_u32_f32_e32 v3, v3
	v_mul_lo_u32 v5, s0, v4
	v_mul_hi_u32 v9, s0, v3
	v_mul_lo_u32 v14, s1, v3
	v_mul_lo_u32 v11, s0, v3
	v_add_u32_e32 v5, v9, v5
	v_add_u32_e32 v5, v5, v14
	v_mul_hi_u32 v9, v3, v11
	v_mul_lo_u32 v14, v3, v5
	v_mul_hi_u32 v16, v3, v5
	v_mul_hi_u32 v15, v4, v11
	v_mul_lo_u32 v11, v4, v11
	v_mul_hi_u32 v17, v4, v5
	v_add_co_u32_e32 v9, vcc, v9, v14
	v_addc_co_u32_e32 v14, vcc, 0, v16, vcc
	v_mul_lo_u32 v5, v4, v5
	v_add_co_u32_e32 v9, vcc, v9, v11
	v_addc_co_u32_e32 v9, vcc, v14, v15, vcc
	v_addc_co_u32_e32 v11, vcc, 0, v17, vcc
	v_add_co_u32_e32 v5, vcc, v9, v5
	v_addc_co_u32_e32 v9, vcc, 0, v11, vcc
	v_add_co_u32_e32 v3, vcc, v3, v5
	v_addc_co_u32_e32 v4, vcc, v4, v9, vcc
	v_mul_lo_u32 v5, s0, v4
	v_mul_hi_u32 v9, s0, v3
	v_mul_lo_u32 v11, s1, v3
	v_mul_lo_u32 v14, s0, v3
	v_add_u32_e32 v5, v9, v5
	v_add_u32_e32 v5, v5, v11
	v_mul_lo_u32 v15, v3, v5
	v_mul_hi_u32 v16, v3, v14
	v_mul_hi_u32 v17, v3, v5
	;; [unrolled: 1-line block ×3, first 2 shown]
	v_mul_lo_u32 v14, v4, v14
	v_mul_hi_u32 v9, v4, v5
	v_add_co_u32_e32 v15, vcc, v16, v15
	v_addc_co_u32_e32 v16, vcc, 0, v17, vcc
	v_mul_lo_u32 v5, v4, v5
	v_add_co_u32_e32 v14, vcc, v15, v14
	v_addc_co_u32_e32 v11, vcc, v16, v11, vcc
	v_addc_co_u32_e32 v9, vcc, 0, v9, vcc
	v_add_co_u32_e32 v5, vcc, v11, v5
	v_addc_co_u32_e32 v9, vcc, 0, v9, vcc
	v_add_co_u32_e32 v5, vcc, v3, v5
	v_addc_co_u32_e32 v9, vcc, v4, v9, vcc
	v_mad_u64_u32 v[3:4], s[0:1], v12, v9, 0
	v_mul_hi_u32 v11, v12, v5
	v_mad_u64_u32 v[14:15], s[0:1], v13, v9, 0
	v_add_co_u32_e32 v11, vcc, v11, v3
	v_addc_co_u32_e32 v16, vcc, 0, v4, vcc
	v_mad_u64_u32 v[3:4], s[0:1], v13, v5, 0
	v_add_co_u32_e32 v3, vcc, v11, v3
	v_addc_co_u32_e32 v3, vcc, v16, v4, vcc
	v_addc_co_u32_e32 v4, vcc, 0, v15, vcc
	v_add_co_u32_e32 v5, vcc, v3, v14
	v_addc_co_u32_e32 v9, vcc, 0, v4, vcc
	v_mul_lo_u32 v11, s25, v5
	v_mul_lo_u32 v14, s24, v9
	v_mad_u64_u32 v[3:4], s[0:1], s24, v5, 0
	v_add3_u32 v4, v4, v14, v11
	v_sub_u32_e32 v11, v13, v4
	v_mov_b32_e32 v14, s25
	v_sub_co_u32_e32 v3, vcc, v12, v3
	v_subb_co_u32_e64 v11, s[0:1], v11, v14, vcc
	v_subrev_co_u32_e64 v14, s[0:1], s24, v3
	v_subbrev_co_u32_e64 v11, s[0:1], 0, v11, s[0:1]
	v_cmp_le_u32_e64 s[0:1], s25, v11
	v_cndmask_b32_e64 v15, 0, -1, s[0:1]
	v_cmp_le_u32_e64 s[0:1], s24, v14
	v_cndmask_b32_e64 v14, 0, -1, s[0:1]
	v_cmp_eq_u32_e64 s[0:1], s25, v11
	v_cndmask_b32_e64 v11, v15, v14, s[0:1]
	v_add_co_u32_e64 v14, s[0:1], 2, v5
	v_addc_co_u32_e64 v15, s[0:1], 0, v9, s[0:1]
	v_add_co_u32_e64 v16, s[0:1], 1, v5
	v_addc_co_u32_e64 v17, s[0:1], 0, v9, s[0:1]
	v_subb_co_u32_e32 v4, vcc, v13, v4, vcc
	v_cmp_ne_u32_e64 s[0:1], 0, v11
	v_cmp_le_u32_e32 vcc, s25, v4
	v_cndmask_b32_e64 v11, v17, v15, s[0:1]
	v_cndmask_b32_e64 v15, 0, -1, vcc
	v_cmp_le_u32_e32 vcc, s24, v3
	v_cndmask_b32_e64 v3, 0, -1, vcc
	v_cmp_eq_u32_e32 vcc, s25, v4
	v_cndmask_b32_e32 v3, v15, v3, vcc
	v_cmp_ne_u32_e32 vcc, 0, v3
	v_cndmask_b32_e64 v3, v16, v14, s[0:1]
	v_cndmask_b32_e32 v4, v9, v11, vcc
	v_cndmask_b32_e32 v3, v5, v3, vcc
.LBB0_4:                                ;   in Loop: Header=BB0_2 Depth=1
	s_andn2_saveexec_b64 s[0:1], s[26:27]
	s_cbranch_execz .LBB0_6
; %bb.5:                                ;   in Loop: Header=BB0_2 Depth=1
	v_cvt_f32_u32_e32 v3, s24
	s_sub_i32 s26, 0, s24
	v_rcp_iflag_f32_e32 v3, v3
	v_mul_f32_e32 v3, 0x4f7ffffe, v3
	v_cvt_u32_f32_e32 v3, v3
	v_mul_lo_u32 v4, s26, v3
	v_mul_hi_u32 v4, v3, v4
	v_add_u32_e32 v3, v3, v4
	v_mul_hi_u32 v3, v12, v3
	v_mul_lo_u32 v4, v3, s24
	v_add_u32_e32 v5, 1, v3
	v_sub_u32_e32 v4, v12, v4
	v_subrev_u32_e32 v9, s24, v4
	v_cmp_le_u32_e32 vcc, s24, v4
	v_cndmask_b32_e32 v4, v4, v9, vcc
	v_cndmask_b32_e32 v3, v3, v5, vcc
	v_add_u32_e32 v5, 1, v3
	v_cmp_le_u32_e32 vcc, s24, v4
	v_cndmask_b32_e32 v3, v3, v5, vcc
	v_mov_b32_e32 v4, v10
.LBB0_6:                                ;   in Loop: Header=BB0_2 Depth=1
	s_or_b64 exec, exec, s[0:1]
	v_mul_lo_u32 v5, v4, s24
	v_mul_lo_u32 v9, v3, s25
	v_mad_u64_u32 v[14:15], s[0:1], v3, s24, 0
	s_load_dwordx2 s[0:1], s[6:7], 0x0
	s_load_dwordx2 s[24:25], s[2:3], 0x0
	v_add3_u32 v5, v15, v9, v5
	v_sub_co_u32_e32 v9, vcc, v12, v14
	v_subb_co_u32_e32 v5, vcc, v13, v5, vcc
	s_waitcnt lgkmcnt(0)
	v_mul_lo_u32 v11, s0, v5
	v_mul_lo_u32 v12, s1, v9
	v_mad_u64_u32 v[6:7], s[0:1], s0, v9, v[6:7]
	s_add_u32 s22, s22, 1
	s_addc_u32 s23, s23, 0
	s_add_u32 s2, s2, 8
	v_mul_lo_u32 v5, s24, v5
	v_mul_lo_u32 v13, s25, v9
	v_mad_u64_u32 v[1:2], s[0:1], s24, v9, v[1:2]
	v_add3_u32 v7, v12, v7, v11
	s_addc_u32 s3, s3, 0
	v_mov_b32_e32 v11, s14
	s_add_u32 s6, s6, 8
	v_mov_b32_e32 v12, s15
	s_addc_u32 s7, s7, 0
	v_cmp_ge_u64_e32 vcc, s[22:23], v[11:12]
	s_add_u32 s20, s20, 8
	v_add3_u32 v2, v13, v2, v5
	s_addc_u32 s21, s21, 0
	s_cbranch_vccnz .LBB0_8
; %bb.7:                                ;   in Loop: Header=BB0_2 Depth=1
	v_mov_b32_e32 v13, v4
	v_mov_b32_e32 v12, v3
	s_branch .LBB0_2
.LBB0_8:
	s_mov_b32 s2, 0xcccccccd
	s_load_dwordx2 s[0:1], s[4:5], 0x28
	v_mul_hi_u32 v5, v8, s2
	s_lshl_b64 s[6:7], s[14:15], 3
	s_add_u32 s4, s18, s6
	s_addc_u32 s5, s19, s7
	v_lshrrev_b32_e32 v5, 2, v5
	v_lshl_add_u32 v5, v5, 2, v5
	s_waitcnt lgkmcnt(0)
	v_cmp_gt_u64_e32 vcc, s[0:1], v[3:4]
	v_cmp_le_u64_e64 s[0:1], s[0:1], v[3:4]
	v_sub_u32_e32 v8, v8, v5
                                        ; implicit-def: $vgpr5
	s_and_saveexec_b64 s[2:3], s[0:1]
	s_xor_b64 s[0:1], exec, s[2:3]
; %bb.9:
	s_mov_b32 s2, 0xba2e8bb
	v_mul_hi_u32 v5, v0, s2
                                        ; implicit-def: $vgpr6_vgpr7
	v_mul_u32_u24_e32 v5, 22, v5
	v_sub_u32_e32 v5, v0, v5
                                        ; implicit-def: $vgpr0
; %bb.10:
	s_or_saveexec_b64 s[2:3], s[0:1]
	s_load_dwordx2 s[4:5], s[4:5], 0x0
	v_mul_u32_u24_e32 v8, 0xf3, v8
	v_lshlrev_b32_e32 v17, 2, v8
	s_xor_b64 exec, exec, s[2:3]
	s_cbranch_execz .LBB0_14
; %bb.11:
	s_add_u32 s0, s16, s6
	s_addc_u32 s1, s17, s7
	s_load_dwordx2 s[0:1], s[0:1], 0x0
	s_mov_b32 s6, 0xba2e8bb
	v_mul_hi_u32 v5, v0, s6
	v_lshlrev_b64 v[6:7], 2, v[6:7]
	s_waitcnt lgkmcnt(0)
	v_mul_lo_u32 v11, s1, v3
	v_mul_lo_u32 v12, s0, v4
	v_mad_u64_u32 v[9:10], s[0:1], s0, v3, 0
	v_mul_u32_u24_e32 v5, 22, v5
	v_sub_u32_e32 v5, v0, v5
	v_add3_u32 v10, v10, v12, v11
	v_lshlrev_b64 v[9:10], 2, v[9:10]
	v_mov_b32_e32 v0, s9
	v_add_co_u32_e64 v9, s[0:1], s8, v9
	v_addc_co_u32_e64 v0, s[0:1], v0, v10, s[0:1]
	v_add_co_u32_e64 v6, s[0:1], v9, v6
	v_addc_co_u32_e64 v7, s[0:1], v0, v7, s[0:1]
	v_lshlrev_b32_e32 v0, 2, v5
	v_add_co_u32_e64 v9, s[0:1], v6, v0
	v_addc_co_u32_e64 v10, s[0:1], 0, v7, s[0:1]
	global_load_dword v11, v[9:10], off
	global_load_dword v12, v[9:10], off offset:88
	global_load_dword v13, v[9:10], off offset:176
	;; [unrolled: 1-line block ×10, first 2 shown]
	v_add3_u32 v0, 0, v17, v0
	v_cmp_eq_u32_e64 s[0:1], 21, v5
	s_waitcnt vmcnt(9)
	ds_write2_b32 v0, v11, v12 offset1:22
	s_waitcnt vmcnt(7)
	ds_write2_b32 v0, v13, v14 offset0:44 offset1:66
	s_waitcnt vmcnt(5)
	ds_write2_b32 v0, v15, v16 offset0:88 offset1:110
	;; [unrolled: 2-line block ×4, first 2 shown]
	s_waitcnt vmcnt(0)
	ds_write_b32 v0, v22 offset:880
	s_and_saveexec_b64 s[6:7], s[0:1]
	s_cbranch_execz .LBB0_13
; %bb.12:
	global_load_dword v5, v[6:7], off offset:968
	s_waitcnt vmcnt(0)
	ds_write_b32 v0, v5 offset:884
	v_mov_b32_e32 v5, 21
.LBB0_13:
	s_or_b64 exec, exec, s[6:7]
.LBB0_14:
	s_or_b64 exec, exec, s[2:3]
	v_lshl_add_u32 v0, v8, 2, 0
	v_lshlrev_b32_e32 v8, 2, v5
	v_add_u32_e32 v18, v0, v8
	s_waitcnt lgkmcnt(0)
	s_barrier
	v_sub_u32_e32 v9, v0, v8
	ds_read_u16 v12, v18
	ds_read_u16 v13, v9 offset:968
	v_cmp_ne_u32_e64 s[0:1], 0, v5
                                        ; implicit-def: $vgpr6_vgpr7
	s_waitcnt lgkmcnt(0)
	v_add_f16_e32 v10, v13, v12
	v_sub_f16_e32 v11, v12, v13
	s_and_saveexec_b64 s[2:3], s[0:1]
	s_xor_b64 s[2:3], exec, s[2:3]
	s_cbranch_execz .LBB0_16
; %bb.15:
	v_mov_b32_e32 v6, 0
	v_lshlrev_b64 v[10:11], 2, v[5:6]
	v_mov_b32_e32 v7, s13
	v_add_co_u32_e64 v10, s[0:1], s12, v10
	v_addc_co_u32_e64 v11, s[0:1], v7, v11, s[0:1]
	global_load_dword v7, v[10:11], off offset:924
	ds_read_u16 v10, v9 offset:970
	ds_read_u16 v11, v18 offset:2
	v_add_f16_e32 v14, v13, v12
	v_sub_f16_e32 v12, v12, v13
	s_waitcnt lgkmcnt(0)
	v_add_f16_e32 v13, v10, v11
	v_sub_f16_e32 v10, v11, v10
	s_waitcnt vmcnt(0)
	v_lshrrev_b32_e32 v11, 16, v7
	v_fma_f16 v15, v12, v11, v14
	v_fma_f16 v16, v13, v11, v10
	v_fma_f16 v14, -v12, v11, v14
	v_fma_f16 v19, v13, v11, -v10
	v_fma_f16 v10, -v7, v13, v15
	v_fma_f16 v11, v12, v7, v16
	v_fma_f16 v13, v7, v13, v14
	;; [unrolled: 1-line block ×3, first 2 shown]
	v_pack_b32_f16 v7, v13, v7
	ds_write_b32 v9, v7 offset:968
	v_mov_b32_e32 v7, v6
	v_mov_b32_e32 v6, v5
.LBB0_16:
	s_andn2_saveexec_b64 s[0:1], s[2:3]
	s_cbranch_execz .LBB0_18
; %bb.17:
	ds_read_b32 v6, v0 offset:484
	s_mov_b32 s2, 0xc0004000
	s_waitcnt lgkmcnt(0)
	v_pk_mul_f16 v12, v6, s2
	v_mov_b32_e32 v6, 0
	v_mov_b32_e32 v7, 0
	ds_write_b32 v0, v12 offset:484
.LBB0_18:
	s_or_b64 exec, exec, s[0:1]
	s_add_u32 s0, s12, 0x39c
	v_lshlrev_b64 v[6:7], 2, v[6:7]
	s_addc_u32 s1, s13, 0
	v_mov_b32_e32 v12, s1
	v_add_co_u32_e64 v6, s[0:1], s0, v6
	v_addc_co_u32_e64 v7, s[0:1], v12, v7, s[0:1]
	global_load_dword v12, v[6:7], off offset:88
	global_load_dword v13, v[6:7], off offset:176
	;; [unrolled: 1-line block ×4, first 2 shown]
	s_mov_b32 s0, 0x5040100
	v_perm_b32 v10, v11, v10, s0
	ds_write_b32 v18, v10
	ds_read_b32 v10, v18 offset:88
	ds_read_b32 v11, v9 offset:880
	v_cmp_gt_u32_e64 s[0:1], 11, v5
	s_waitcnt lgkmcnt(0)
	v_add_f16_e32 v16, v10, v11
	v_add_f16_sdwa v19, v11, v10 dst_sel:DWORD dst_unused:UNUSED_PAD src0_sel:WORD_1 src1_sel:WORD_1
	v_sub_f16_e32 v20, v10, v11
	v_sub_f16_sdwa v10, v10, v11 dst_sel:DWORD dst_unused:UNUSED_PAD src0_sel:WORD_1 src1_sel:WORD_1
	s_waitcnt vmcnt(3)
	v_lshrrev_b32_e32 v11, 16, v12
	v_fma_f16 v21, v20, v11, v16
	v_fma_f16 v22, v19, v11, v10
	v_fma_f16 v16, -v20, v11, v16
	v_fma_f16 v10, v19, v11, -v10
	v_fma_f16 v11, -v12, v19, v21
	v_fma_f16 v21, v20, v12, v22
	v_fma_f16 v16, v12, v19, v16
	v_fma_f16 v10, v20, v12, v10
	v_pack_b32_f16 v11, v11, v21
	v_pack_b32_f16 v10, v16, v10
	ds_write_b32 v18, v11 offset:88
	ds_write_b32 v9, v10 offset:880
	ds_read_b32 v10, v18 offset:176
	ds_read_b32 v11, v9 offset:792
	s_waitcnt vmcnt(2)
	v_lshrrev_b32_e32 v12, 16, v13
	s_waitcnt lgkmcnt(0)
	v_add_f16_e32 v16, v10, v11
	v_add_f16_sdwa v19, v11, v10 dst_sel:DWORD dst_unused:UNUSED_PAD src0_sel:WORD_1 src1_sel:WORD_1
	v_sub_f16_e32 v20, v10, v11
	v_sub_f16_sdwa v10, v10, v11 dst_sel:DWORD dst_unused:UNUSED_PAD src0_sel:WORD_1 src1_sel:WORD_1
	v_fma_f16 v11, v20, v12, v16
	v_fma_f16 v21, v19, v12, v10
	v_fma_f16 v16, -v20, v12, v16
	v_fma_f16 v10, v19, v12, -v10
	v_fma_f16 v11, -v13, v19, v11
	v_fma_f16 v12, v20, v13, v21
	v_fma_f16 v16, v13, v19, v16
	v_fma_f16 v10, v20, v13, v10
	v_pack_b32_f16 v11, v11, v12
	v_pack_b32_f16 v10, v16, v10
	ds_write_b32 v18, v11 offset:176
	ds_write_b32 v9, v10 offset:792
	ds_read_b32 v10, v18 offset:264
	ds_read_b32 v11, v9 offset:704
	s_waitcnt vmcnt(1)
	v_lshrrev_b32_e32 v12, 16, v14
	s_waitcnt lgkmcnt(0)
	v_add_f16_e32 v13, v10, v11
	v_add_f16_sdwa v16, v11, v10 dst_sel:DWORD dst_unused:UNUSED_PAD src0_sel:WORD_1 src1_sel:WORD_1
	v_sub_f16_e32 v19, v10, v11
	v_sub_f16_sdwa v10, v10, v11 dst_sel:DWORD dst_unused:UNUSED_PAD src0_sel:WORD_1 src1_sel:WORD_1
	;; [unrolled: 21-line block ×3, first 2 shown]
	v_fma_f16 v11, v16, v12, v13
	v_fma_f16 v19, v14, v12, v10
	v_fma_f16 v13, -v16, v12, v13
	v_fma_f16 v10, v14, v12, -v10
	v_fma_f16 v11, -v15, v14, v11
	v_fma_f16 v12, v16, v15, v19
	v_fma_f16 v13, v15, v14, v13
	;; [unrolled: 1-line block ×3, first 2 shown]
	v_pack_b32_f16 v11, v11, v12
	v_pack_b32_f16 v10, v13, v10
	ds_write_b32 v18, v11 offset:352
	ds_write_b32 v9, v10 offset:616
	s_and_saveexec_b64 s[2:3], s[0:1]
	s_cbranch_execz .LBB0_20
; %bb.19:
	global_load_dword v6, v[6:7], off offset:440
	ds_read_b32 v7, v18 offset:440
	ds_read_b32 v10, v9 offset:528
	s_waitcnt lgkmcnt(0)
	v_add_f16_e32 v11, v7, v10
	v_add_f16_sdwa v12, v10, v7 dst_sel:DWORD dst_unused:UNUSED_PAD src0_sel:WORD_1 src1_sel:WORD_1
	v_sub_f16_e32 v13, v7, v10
	v_sub_f16_sdwa v7, v7, v10 dst_sel:DWORD dst_unused:UNUSED_PAD src0_sel:WORD_1 src1_sel:WORD_1
	s_waitcnt vmcnt(0)
	v_lshrrev_b32_e32 v10, 16, v6
	v_fma_f16 v14, v13, v10, v11
	v_fma_f16 v15, v12, v10, v7
	v_fma_f16 v11, -v13, v10, v11
	v_fma_f16 v7, v12, v10, -v7
	v_fma_f16 v10, -v6, v12, v14
	v_fma_f16 v14, v13, v6, v15
	v_fma_f16 v11, v6, v12, v11
	;; [unrolled: 1-line block ×3, first 2 shown]
	v_pack_b32_f16 v7, v10, v14
	v_pack_b32_f16 v6, v11, v6
	ds_write_b32 v18, v7 offset:440
	ds_write_b32 v9, v6 offset:528
.LBB0_20:
	s_or_b64 exec, exec, s[2:3]
	s_waitcnt lgkmcnt(0)
	s_barrier
	s_barrier
	v_add3_u32 v16, 0, v8, v17
	ds_read_b32 v19, v18
	ds_read2_b32 v[6:7], v16 offset0:22 offset1:44
	ds_read2_b32 v[8:9], v16 offset0:66 offset1:88
	ds_read2_b32 v[10:11], v16 offset0:110 offset1:132
	ds_read2_b32 v[12:13], v16 offset0:154 offset1:176
	ds_read2_b32 v[14:15], v16 offset0:198 offset1:220
	s_waitcnt lgkmcnt(4)
	v_pk_add_f16 v20, v19, v6
	v_pk_add_f16 v20, v20, v7
	s_waitcnt lgkmcnt(3)
	v_pk_add_f16 v20, v20, v8
	v_pk_add_f16 v20, v20, v9
	;; [unrolled: 3-line block ×5, first 2 shown]
	v_pk_add_f16 v6, v6, v15 neg_lo:[0,1] neg_hi:[0,1]
	s_mov_b32 s16, 0xb853
	v_pk_add_f16 v20, v20, v15
	v_pk_mul_f16 v15, v6, s16 op_sel_hi:[1,0]
	s_movk_i32 s8, 0x3abb
	s_mov_b32 s14, 0xbb47
	v_pk_add_f16 v24, v14, v7
	v_pk_add_f16 v7, v7, v14 neg_lo:[0,1] neg_hi:[0,1]
	v_pk_fma_f16 v22, v21, s8, v15 op_sel:[0,0,1] op_sel_hi:[1,0,0]
	v_pk_fma_f16 v15, v21, s8, v15 op_sel:[0,0,1] op_sel_hi:[1,0,0] neg_lo:[0,0,1] neg_hi:[0,0,1]
	s_mov_b32 s6, 0xffff
	s_movk_i32 s2, 0x36a6
	v_pk_mul_f16 v14, v7, s14 op_sel_hi:[1,0]
	v_bfi_b32 v23, s6, v22, v15
	v_pk_fma_f16 v25, v24, s2, v14 op_sel:[0,0,1] op_sel_hi:[1,0,0]
	v_pk_fma_f16 v14, v24, s2, v14 op_sel:[0,0,1] op_sel_hi:[1,0,0] neg_lo:[0,0,1] neg_hi:[0,0,1]
	v_pk_add_f16 v23, v19, v23
	v_bfi_b32 v26, s6, v25, v14
	s_mov_b32 s3, 0xbbeb
	v_pk_add_f16 v23, v26, v23
	v_pk_add_f16 v26, v13, v8
	v_pk_add_f16 v8, v8, v13 neg_lo:[0,1] neg_hi:[0,1]
	s_mov_b32 s7, 0xb08e
	v_pk_mul_f16 v13, v8, s3 op_sel_hi:[1,0]
	v_pk_fma_f16 v27, v26, s7, v13 op_sel:[0,0,1] op_sel_hi:[1,0,0]
	v_pk_fma_f16 v13, v26, s7, v13 op_sel:[0,0,1] op_sel_hi:[1,0,0] neg_lo:[0,0,1] neg_hi:[0,0,1]
	v_bfi_b32 v28, s6, v27, v13
	s_mov_b32 s9, 0xba0c
	v_pk_add_f16 v23, v28, v23
	v_pk_add_f16 v28, v12, v9
	v_pk_add_f16 v9, v9, v12 neg_lo:[0,1] neg_hi:[0,1]
	s_mov_b32 s15, 0xb93d
	v_pk_mul_f16 v12, v9, s9 op_sel_hi:[1,0]
	v_pk_fma_f16 v29, v28, s15, v12 op_sel:[0,0,1] op_sel_hi:[1,0,0]
	v_pk_fma_f16 v12, v28, s15, v12 op_sel:[0,0,1] op_sel_hi:[1,0,0] neg_lo:[0,0,1] neg_hi:[0,0,1]
	v_bfi_b32 v30, s6, v29, v12
	s_mov_b32 s18, 0xb482
	v_pk_add_f16 v23, v30, v23
	v_pk_add_f16 v30, v11, v10
	v_pk_add_f16 v10, v10, v11 neg_lo:[0,1] neg_hi:[0,1]
	s_mov_b32 s17, 0xbbad
	v_pk_mul_f16 v11, v10, s18 op_sel_hi:[1,0]
	v_pk_fma_f16 v31, v30, s17, v11 op_sel:[0,0,1] op_sel_hi:[1,0,0]
	v_pk_fma_f16 v11, v30, s17, v11 op_sel:[0,0,1] op_sel_hi:[1,0,0] neg_lo:[0,0,1] neg_hi:[0,0,1]
	v_bfi_b32 v32, s6, v31, v11
	v_pk_add_f16 v23, v32, v23
	v_mad_u32_u24 v32, v5, 40, v16
	s_barrier
	ds_write2_b32 v32, v20, v23 offset1:1
	v_mul_f16_sdwa v20, v6, s14 dst_sel:DWORD dst_unused:UNUSED_PAD src0_sel:WORD_1 src1_sel:DWORD
	v_fma_f16 v23, v21, s2, v20
	v_mul_f16_sdwa v33, v7, s9 dst_sel:DWORD dst_unused:UNUSED_PAD src0_sel:WORD_1 src1_sel:DWORD
	v_add_f16_e32 v23, v19, v23
	v_fma_f16 v34, v24, s15, v33
	v_add_f16_e32 v23, v34, v23
	s_movk_i32 s19, 0x3b47
	v_mul_f16_sdwa v34, v21, s2 dst_sel:DWORD dst_unused:UNUSED_PAD src0_sel:WORD_1 src1_sel:DWORD
	v_fma_f16 v35, v6, s19, v34
	s_movk_i32 s20, 0x3a0c
	v_mul_f16_sdwa v36, v24, s15 dst_sel:DWORD dst_unused:UNUSED_PAD src0_sel:WORD_1 src1_sel:DWORD
	v_add_f16_sdwa v35, v19, v35 dst_sel:DWORD dst_unused:UNUSED_PAD src0_sel:WORD_1 src1_sel:DWORD
	v_fma_f16 v37, v7, s20, v36
	v_add_f16_e32 v35, v37, v35
	v_mul_f16_sdwa v37, v6, s3 dst_sel:DWORD dst_unused:UNUSED_PAD src0_sel:WORD_1 src1_sel:DWORD
	s_movk_i32 s21, 0x3482
	v_fma_f16 v38, v21, s7, v37
	v_mul_f16_sdwa v39, v7, s21 dst_sel:DWORD dst_unused:UNUSED_PAD src0_sel:WORD_1 src1_sel:DWORD
	v_add_f16_e32 v38, v19, v38
	v_fma_f16 v40, v24, s17, v39
	v_add_f16_e32 v38, v40, v38
	s_movk_i32 s22, 0x3beb
	v_mul_f16_sdwa v40, v21, s7 dst_sel:DWORD dst_unused:UNUSED_PAD src0_sel:WORD_1 src1_sel:DWORD
	v_fma_f16 v41, v6, s22, v40
	v_mul_f16_sdwa v42, v24, s17 dst_sel:DWORD dst_unused:UNUSED_PAD src0_sel:WORD_1 src1_sel:DWORD
	v_add_f16_sdwa v41, v19, v41 dst_sel:DWORD dst_unused:UNUSED_PAD src0_sel:WORD_1 src1_sel:DWORD
	v_fma_f16 v43, v7, s18, v42
	v_add_f16_e32 v41, v43, v41
	v_mul_f16_sdwa v43, v8, s21 dst_sel:DWORD dst_unused:UNUSED_PAD src0_sel:WORD_1 src1_sel:DWORD
	v_fma_f16 v44, v26, s17, v43
	v_add_f16_e32 v23, v44, v23
	v_mul_f16_sdwa v44, v26, s17 dst_sel:DWORD dst_unused:UNUSED_PAD src0_sel:WORD_1 src1_sel:DWORD
	;; [unrolled: 3-line block ×7, first 2 shown]
	v_fma_f16 v50, v28, s8, v49
	v_add_f16_e32 v38, v50, v38
	s_movk_i32 s23, 0x3853
	v_mul_f16_sdwa v50, v28, s8 dst_sel:DWORD dst_unused:UNUSED_PAD src0_sel:WORD_1 src1_sel:DWORD
	v_fma_f16 v51, v9, s23, v50
	v_add_f16_e32 v41, v51, v41
	v_mul_f16_sdwa v51, v10, s23 dst_sel:DWORD dst_unused:UNUSED_PAD src0_sel:WORD_1 src1_sel:DWORD
	v_fma_f16 v52, v30, s8, v51
	v_add_f16_e32 v23, v52, v23
	;; [unrolled: 3-line block ×5, first 2 shown]
	v_pack_b32_f16 v38, v38, v41
	v_pack_b32_f16 v23, v23, v35
	v_fma_f16 v20, v21, s2, -v20
	ds_write2_b32 v32, v23, v38 offset0:2 offset1:3
	v_add_f16_e32 v20, v19, v20
	v_fma_f16 v23, v24, s15, -v33
	v_add_f16_e32 v20, v23, v20
	v_fma_f16 v23, v6, s14, v34
	v_add_f16_sdwa v23, v19, v23 dst_sel:DWORD dst_unused:UNUSED_PAD src0_sel:WORD_1 src1_sel:DWORD
	v_fma_f16 v33, v7, s9, v36
	v_add_f16_e32 v23, v33, v23
	v_fma_f16 v33, v21, s7, -v37
	v_add_f16_e32 v33, v19, v33
	v_fma_f16 v34, v24, s17, -v39
	v_add_f16_e32 v33, v34, v33
	v_fma_f16 v34, v6, s3, v40
	v_add_f16_sdwa v34, v19, v34 dst_sel:DWORD dst_unused:UNUSED_PAD src0_sel:WORD_1 src1_sel:DWORD
	v_fma_f16 v35, v7, s21, v42
	v_add_f16_e32 v34, v35, v34
	v_mul_f16_sdwa v35, v6, s9 dst_sel:DWORD dst_unused:UNUSED_PAD src0_sel:WORD_1 src1_sel:DWORD
	v_fma_f16 v36, v21, s15, v35
	v_mul_f16_sdwa v37, v7, s22 dst_sel:DWORD dst_unused:UNUSED_PAD src0_sel:WORD_1 src1_sel:DWORD
	v_add_f16_e32 v36, v19, v36
	v_fma_f16 v38, v24, s7, v37
	v_fma_f16 v35, v21, s15, -v35
	v_add_f16_e32 v36, v38, v36
	v_mul_f16_sdwa v38, v21, s15 dst_sel:DWORD dst_unused:UNUSED_PAD src0_sel:WORD_1 src1_sel:DWORD
	v_add_f16_e32 v35, v19, v35
	v_fma_f16 v37, v24, s7, -v37
	v_mul_f16_sdwa v40, v24, s7 dst_sel:DWORD dst_unused:UNUSED_PAD src0_sel:WORD_1 src1_sel:DWORD
	v_add_f16_e32 v35, v37, v35
	v_fma_f16 v37, v6, s9, v38
	v_fma_f16 v39, v6, s20, v38
	v_add_f16_sdwa v37, v19, v37 dst_sel:DWORD dst_unused:UNUSED_PAD src0_sel:WORD_1 src1_sel:DWORD
	v_fma_f16 v38, v7, s22, v40
	v_add_f16_e32 v37, v38, v37
	v_fma_f16 v38, v26, s17, -v43
	v_add_f16_e32 v20, v38, v20
	v_fma_f16 v38, v8, s21, v44
	v_add_f16_e32 v23, v38, v23
	v_fma_f16 v38, v26, s2, -v45
	v_add_f16_e32 v33, v38, v33
	v_fma_f16 v38, v8, s19, v46
	v_add_f16_e32 v34, v38, v34
	v_mul_f16_sdwa v38, v8, s16 dst_sel:DWORD dst_unused:UNUSED_PAD src0_sel:WORD_1 src1_sel:DWORD
	v_fma_f16 v41, v7, s3, v40
	v_fma_f16 v40, v26, s8, v38
	v_add_f16_e32 v36, v40, v36
	v_mul_f16_sdwa v40, v26, s8 dst_sel:DWORD dst_unused:UNUSED_PAD src0_sel:WORD_1 src1_sel:DWORD
	v_fma_f16 v38, v26, s8, -v38
	v_add_f16_e32 v35, v38, v35
	v_fma_f16 v38, v8, s16, v40
	v_add_f16_e32 v37, v38, v37
	v_fma_f16 v38, v28, s7, -v47
	v_add_f16_e32 v20, v38, v20
	v_fma_f16 v38, v9, s22, v48
	v_add_f16_e32 v23, v38, v23
	v_fma_f16 v38, v28, s8, -v49
	v_add_f16_e32 v33, v38, v33
	v_fma_f16 v38, v9, s16, v50
	v_add_f16_sdwa v39, v19, v39 dst_sel:DWORD dst_unused:UNUSED_PAD src0_sel:WORD_1 src1_sel:DWORD
	v_add_f16_e32 v34, v38, v34
	v_mul_f16_sdwa v38, v9, s18 dst_sel:DWORD dst_unused:UNUSED_PAD src0_sel:WORD_1 src1_sel:DWORD
	v_add_f16_e32 v39, v41, v39
	v_fma_f16 v41, v8, s23, v40
	v_fma_f16 v40, v28, s17, v38
	v_add_f16_e32 v36, v40, v36
	v_mul_f16_sdwa v40, v28, s17 dst_sel:DWORD dst_unused:UNUSED_PAD src0_sel:WORD_1 src1_sel:DWORD
	v_fma_f16 v38, v28, s17, -v38
	v_add_f16_e32 v35, v38, v35
	v_fma_f16 v38, v9, s18, v40
	v_add_f16_e32 v37, v38, v37
	v_fma_f16 v38, v30, s8, -v51
	v_add_f16_e32 v20, v38, v20
	v_fma_f16 v38, v10, s23, v52
	v_add_f16_e32 v23, v38, v23
	;; [unrolled: 4-line block ×3, first 2 shown]
	v_mul_f16_sdwa v38, v10, s19 dst_sel:DWORD dst_unused:UNUSED_PAD src0_sel:WORD_1 src1_sel:DWORD
	v_add_f16_e32 v39, v41, v39
	v_fma_f16 v41, v9, s21, v40
	v_fma_f16 v40, v30, s2, v38
	v_add_f16_e32 v36, v40, v36
	v_mul_f16_sdwa v40, v30, s2 dst_sel:DWORD dst_unused:UNUSED_PAD src0_sel:WORD_1 src1_sel:DWORD
	v_add_f16_e32 v39, v41, v39
	v_fma_f16 v41, v10, s14, v40
	v_add_f16_e32 v39, v41, v39
	v_fma_f16 v38, v30, s2, -v38
	v_pack_b32_f16 v36, v36, v39
	v_pk_mul_f16 v21, v21, s17 op_sel_hi:[1,0]
	v_add_f16_e32 v35, v38, v35
	v_fma_f16 v38, v10, s19, v40
	ds_write_b32 v32, v36 offset:16
	v_pk_fma_f16 v36, v6, s18, v21 op_sel:[0,0,1] op_sel_hi:[1,0,0]
	v_pk_fma_f16 v6, v6, s18, v21 op_sel:[0,0,1] op_sel_hi:[1,0,0] neg_lo:[1,0,0] neg_hi:[1,0,0]
	v_alignbit_b32 v21, s0, v19, 16
	v_pk_mul_f16 v24, v24, s8 op_sel_hi:[1,0]
	v_add_f16_e32 v37, v38, v37
	v_pk_add_f16 v21, v21, v36
	v_pk_fma_f16 v38, v7, s23, v24 op_sel:[0,0,1] op_sel_hi:[1,0,0]
	v_pk_fma_f16 v7, v7, s23, v24 op_sel:[0,0,1] op_sel_hi:[1,0,0] neg_lo:[1,0,0] neg_hi:[1,0,0]
	v_pk_add_f16 v6, v19, v6 op_sel:[1,0] op_sel_hi:[0,1]
	v_pk_add_f16 v6, v7, v6
	v_pk_add_f16 v7, v38, v21
	v_pk_mul_f16 v21, v26, s15 op_sel_hi:[1,0]
	v_pk_fma_f16 v24, v8, s9, v21 op_sel:[0,0,1] op_sel_hi:[1,0,0]
	v_pk_fma_f16 v8, v8, s9, v21 op_sel:[0,0,1] op_sel_hi:[1,0,0] neg_lo:[1,0,0] neg_hi:[1,0,0]
	v_alignbit_b32 v36, s0, v36, 16
	v_pk_add_f16 v6, v8, v6
	v_pk_mul_f16 v8, v28, s2 op_sel_hi:[1,0]
	v_pk_add_f16 v36, v19, v36
	v_alignbit_b32 v39, s0, v38, 16
	v_pk_fma_f16 v21, v9, s19, v8 op_sel:[0,0,1] op_sel_hi:[1,0,0]
	v_pk_fma_f16 v8, v9, s19, v8 op_sel:[0,0,1] op_sel_hi:[1,0,0] neg_lo:[1,0,0] neg_hi:[1,0,0]
	v_pk_add_f16 v36, v39, v36
	v_alignbit_b32 v26, s0, v24, 16
	v_pk_add_f16 v6, v8, v6
	v_pk_mul_f16 v8, v30, s7 op_sel_hi:[1,0]
	v_pk_add_f16 v26, v26, v36
	v_pk_add_f16 v7, v24, v7
	v_alignbit_b32 v24, s0, v21, 16
	v_pk_fma_f16 v9, v10, s3, v8 op_sel:[0,0,1] op_sel_hi:[1,0,0]
	v_pk_add_f16 v24, v24, v26
	v_pk_add_f16 v7, v21, v7
	v_alignbit_b32 v21, s0, v9, 16
	v_pk_fma_f16 v8, v10, s3, v8 op_sel:[0,0,1] op_sel_hi:[1,0,0] neg_lo:[1,0,0] neg_hi:[1,0,0]
	v_pk_add_f16 v21, v21, v24
	v_pk_add_f16 v6, v8, v6
	;; [unrolled: 1-line block ×3, first 2 shown]
	v_alignbit_b32 v7, v7, v6, 16
	v_pack_b32_f16 v6, v21, v6
	ds_write2_b32 v32, v6, v7 offset0:5 offset1:6
	v_pack_b32_f16 v6, v33, v34
	v_pack_b32_f16 v7, v35, v37
	ds_write2_b32 v32, v7, v6 offset0:7 offset1:8
	v_bfi_b32 v6, s6, v15, v22
	v_pk_add_f16 v6, v19, v6
	v_bfi_b32 v7, s6, v14, v25
	v_pk_add_f16 v6, v7, v6
	;; [unrolled: 2-line block ×5, first 2 shown]
	v_pack_b32_f16 v7, v20, v23
	ds_write2_b32 v32, v7, v6 offset0:9 offset1:10
	s_waitcnt lgkmcnt(0)
	s_barrier
	ds_read2_b32 v[8:9], v16 offset0:121 offset1:143
	ds_read2_b32 v[10:11], v16 offset0:22 offset1:44
	ds_read2_b32 v[14:15], v16 offset0:165 offset1:187
	ds_read2_b32 v[12:13], v16 offset0:66 offset1:88
	ds_read_b32 v21, v18
	ds_read_b32 v22, v16 offset:836
	v_lshrrev_b32_e32 v19, 16, v6
                                        ; implicit-def: $vgpr20
	s_and_saveexec_b64 s[2:3], s[0:1]
	s_cbranch_execz .LBB0_22
; %bb.21:
	ds_read2_b32 v[6:7], v16 offset0:110 offset1:231
	s_waitcnt lgkmcnt(0)
	v_lshrrev_b32_e32 v19, 16, v6
	v_lshrrev_b32_e32 v20, 16, v7
.LBB0_22:
	s_or_b64 exec, exec, s[2:3]
	v_add_u16_e32 v23, 22, v5
	s_movk_i32 s7, 0x75
	v_mul_lo_u16_sdwa v24, v23, s7 dst_sel:DWORD dst_unused:UNUSED_PAD src0_sel:BYTE_0 src1_sel:DWORD
	v_sub_u16_sdwa v25, v23, v24 dst_sel:DWORD dst_unused:UNUSED_PAD src0_sel:DWORD src1_sel:BYTE_1
	v_lshrrev_b16_e32 v25, 1, v25
	v_and_b32_e32 v25, 0x7f, v25
	v_add_u16_sdwa v24, v25, v24 dst_sel:DWORD dst_unused:UNUSED_PAD src0_sel:DWORD src1_sel:BYTE_1
	v_lshrrev_b16_e32 v27, 3, v24
	v_mul_lo_u16_e32 v24, 11, v27
	v_sub_u16_e32 v24, v23, v24
	v_add_u16_e32 v23, 44, v5
	v_mul_lo_u16_sdwa v25, v23, s7 dst_sel:DWORD dst_unused:UNUSED_PAD src0_sel:BYTE_0 src1_sel:DWORD
	v_sub_u16_sdwa v26, v23, v25 dst_sel:DWORD dst_unused:UNUSED_PAD src0_sel:DWORD src1_sel:BYTE_1
	v_lshrrev_b16_e32 v26, 1, v26
	v_and_b32_e32 v26, 0x7f, v26
	v_add_u16_sdwa v25, v26, v25 dst_sel:DWORD dst_unused:UNUSED_PAD src0_sel:DWORD src1_sel:BYTE_1
	v_lshrrev_b16_e32 v28, 3, v25
	v_mul_lo_u16_e32 v25, 11, v28
	v_sub_u16_e32 v25, v23, v25
	v_add_u16_e32 v23, 0x42, v5
	;; [unrolled: 9-line block ×3, first 2 shown]
	v_mul_lo_u16_sdwa v30, v23, s7 dst_sel:DWORD dst_unused:UNUSED_PAD src0_sel:BYTE_0 src1_sel:DWORD
	v_sub_u16_sdwa v31, v23, v30 dst_sel:DWORD dst_unused:UNUSED_PAD src0_sel:DWORD src1_sel:BYTE_1
	v_lshrrev_b16_e32 v31, 1, v31
	v_and_b32_e32 v31, 0x7f, v31
	v_add_u16_sdwa v30, v31, v30 dst_sel:DWORD dst_unused:UNUSED_PAD src0_sel:DWORD src1_sel:BYTE_1
	v_lshrrev_b16_e32 v30, 3, v30
	v_mul_lo_u16_e32 v31, 11, v30
	v_sub_u16_e32 v31, v23, v31
	v_mov_b32_e32 v23, 2
	v_lshlrev_b32_sdwa v32, v23, v24 dst_sel:DWORD dst_unused:UNUSED_PAD src0_sel:DWORD src1_sel:BYTE_0
	v_add_u32_e32 v24, -11, v5
	v_lshlrev_b32_sdwa v33, v23, v25 dst_sel:DWORD dst_unused:UNUSED_PAD src0_sel:DWORD src1_sel:BYTE_0
	v_cndmask_b32_e64 v24, v24, v5, s[0:1]
	v_mov_b32_e32 v25, 0
	v_lshlrev_b32_sdwa v34, v23, v26 dst_sel:DWORD dst_unused:UNUSED_PAD src0_sel:DWORD src1_sel:BYTE_0
	v_lshlrev_b64 v[25:26], 2, v[24:25]
	v_mov_b32_e32 v39, s13
	v_add_co_u32_e64 v25, s[2:3], s12, v25
	v_lshlrev_b32_sdwa v31, v23, v31 dst_sel:DWORD dst_unused:UNUSED_PAD src0_sel:DWORD src1_sel:BYTE_0
	v_addc_co_u32_e64 v26, s[2:3], v39, v26, s[2:3]
	global_load_dword v35, v31, s[12:13]
	global_load_dword v36, v34, s[12:13]
	;; [unrolled: 1-line block ×4, first 2 shown]
	v_cmp_lt_u32_e64 s[2:3], 10, v5
	global_load_dword v25, v[25:26], off
	v_mov_b32_e32 v26, 0x58
	v_cndmask_b32_e64 v26, 0, v26, s[2:3]
	s_movk_i32 s8, 0x58
	v_add_u32_e32 v26, 0, v26
	v_lshlrev_b32_e32 v24, 2, v24
	v_add3_u32 v24, v26, v24, v17
	v_mad_u32_u24 v26, v27, s8, 0
	v_mad_u32_u24 v27, v28, s8, 0
	;; [unrolled: 1-line block ×4, first 2 shown]
	v_add3_u32 v29, v29, v31, v17
	v_add3_u32 v26, v26, v32, v17
	;; [unrolled: 1-line block ×4, first 2 shown]
	s_waitcnt vmcnt(0) lgkmcnt(0)
	s_barrier
	v_pk_mul_f16 v30, v35, v22 op_sel:[0,1]
	v_pk_mul_f16 v31, v36, v15 op_sel:[0,1]
	v_pk_mul_f16 v32, v37, v14 op_sel:[0,1]
	v_pk_fma_f16 v34, v35, v22, v30 op_sel:[0,0,1] op_sel_hi:[1,1,0]
	v_pk_fma_f16 v22, v35, v22, v30 op_sel:[0,0,1] op_sel_hi:[1,0,0] neg_lo:[1,0,0] neg_hi:[1,0,0]
	v_pk_fma_f16 v30, v36, v15, v31 op_sel:[0,0,1] op_sel_hi:[1,1,0]
	v_pk_fma_f16 v15, v36, v15, v31 op_sel:[0,0,1] op_sel_hi:[1,0,0] neg_lo:[1,0,0] neg_hi:[1,0,0]
	;; [unrolled: 2-line block ×3, first 2 shown]
	v_bfi_b32 v15, s6, v30, v15
	v_pk_mul_f16 v30, v25, v8 op_sel:[0,1]
	v_pk_mul_f16 v33, v38, v9 op_sel:[0,1]
	v_bfi_b32 v14, s6, v31, v14
	v_pk_fma_f16 v31, v25, v8, v30 op_sel:[0,0,1] op_sel_hi:[1,1,0]
	v_pk_fma_f16 v8, v25, v8, v30 op_sel:[0,0,1] op_sel_hi:[1,0,0] neg_lo:[1,0,0] neg_hi:[1,0,0]
	v_pk_fma_f16 v32, v38, v9, v33 op_sel:[0,0,1] op_sel_hi:[1,1,0]
	v_pk_fma_f16 v9, v38, v9, v33 op_sel:[0,0,1] op_sel_hi:[1,0,0] neg_lo:[1,0,0] neg_hi:[1,0,0]
	v_bfi_b32 v8, s6, v31, v8
	v_bfi_b32 v22, s6, v34, v22
	;; [unrolled: 1-line block ×3, first 2 shown]
	v_pk_add_f16 v8, v21, v8 neg_lo:[0,1] neg_hi:[0,1]
	v_pk_add_f16 v22, v13, v22 neg_lo:[0,1] neg_hi:[0,1]
	;; [unrolled: 1-line block ×5, first 2 shown]
	v_pk_fma_f16 v21, v21, 2.0, v8 op_sel_hi:[1,0,1] neg_lo:[0,0,1] neg_hi:[0,0,1]
	v_pk_fma_f16 v13, v13, 2.0, v22 op_sel_hi:[1,0,1] neg_lo:[0,0,1] neg_hi:[0,0,1]
	;; [unrolled: 1-line block ×5, first 2 shown]
	ds_write2_b32 v24, v21, v8 offset1:11
	ds_write2_b32 v26, v10, v9 offset1:11
	;; [unrolled: 1-line block ×5, first 2 shown]
	s_and_saveexec_b64 s[2:3], s[0:1]
	s_cbranch_execz .LBB0_24
; %bb.23:
	v_add_u16_e32 v8, 0x6e, v5
	v_mul_lo_u16_sdwa v9, v8, s7 dst_sel:DWORD dst_unused:UNUSED_PAD src0_sel:BYTE_0 src1_sel:DWORD
	v_sub_u16_sdwa v10, v8, v9 dst_sel:DWORD dst_unused:UNUSED_PAD src0_sel:DWORD src1_sel:BYTE_1
	v_lshrrev_b16_e32 v10, 1, v10
	v_and_b32_e32 v10, 0x7f, v10
	v_add_u16_sdwa v9, v10, v9 dst_sel:DWORD dst_unused:UNUSED_PAD src0_sel:DWORD src1_sel:BYTE_1
	v_lshrrev_b16_e32 v9, 3, v9
	v_mul_lo_u16_e32 v9, 11, v9
	v_sub_u16_e32 v8, v8, v9
	v_lshlrev_b32_sdwa v8, v23, v8 dst_sel:DWORD dst_unused:UNUSED_PAD src0_sel:DWORD src1_sel:BYTE_0
	global_load_dword v9, v8, s[12:13]
	v_add3_u32 v8, 0, v8, v17
	s_waitcnt vmcnt(0)
	v_mul_f16_sdwa v10, v20, v9 dst_sel:DWORD dst_unused:UNUSED_PAD src0_sel:DWORD src1_sel:WORD_1
	v_mul_f16_sdwa v11, v7, v9 dst_sel:DWORD dst_unused:UNUSED_PAD src0_sel:DWORD src1_sel:WORD_1
	v_fma_f16 v7, v7, v9, v10
	v_fma_f16 v9, v20, v9, -v11
	v_sub_f16_e32 v7, v6, v7
	v_sub_f16_e32 v9, v19, v9
	v_fma_f16 v6, v6, 2.0, -v7
	v_fma_f16 v10, v19, 2.0, -v9
	v_pack_b32_f16 v6, v6, v10
	v_pack_b32_f16 v7, v7, v9
	ds_write2_b32 v8, v6, v7 offset0:220 offset1:231
.LBB0_24:
	s_or_b64 exec, exec, s[2:3]
	v_mul_u32_u24_e32 v6, 10, v5
	v_lshlrev_b32_e32 v17, 2, v6
	s_waitcnt lgkmcnt(0)
	s_barrier
	global_load_dwordx4 v[6:9], v17, s[12:13] offset:44
	global_load_dwordx4 v[10:13], v17, s[12:13] offset:60
	global_load_dwordx2 v[14:15], v17, s[12:13] offset:76
	ds_read2_b32 v[19:20], v16 offset0:22 offset1:44
	ds_read2_b32 v[21:22], v16 offset0:66 offset1:88
	ds_read_b32 v27, v18
	ds_read_u16 v28, v16 offset:442
	ds_read2_b32 v[17:18], v16 offset0:110 offset1:132
	ds_read2_b32 v[23:24], v16 offset0:154 offset1:176
	;; [unrolled: 1-line block ×3, first 2 shown]
	s_waitcnt lgkmcnt(6)
	v_lshrrev_b32_e32 v34, 16, v19
	v_lshrrev_b32_e32 v35, 16, v20
	s_waitcnt lgkmcnt(2)
	v_lshrrev_b32_e32 v29, 16, v18
	v_lshrrev_b32_e32 v36, 16, v21
	v_lshrrev_b32_e32 v37, 16, v22
	s_waitcnt lgkmcnt(1)
	v_lshrrev_b32_e32 v30, 16, v23
	v_lshrrev_b32_e32 v31, 16, v24
	s_waitcnt lgkmcnt(0)
	v_lshrrev_b32_e32 v33, 16, v26
	v_lshrrev_b32_e32 v32, 16, v25
	s_mov_b32 s0, 0xb853
	s_movk_i32 s1, 0x3abb
	s_movk_i32 s9, 0x3853
	s_mov_b32 s3, 0xbb47
	s_movk_i32 s6, 0x36a6
	s_movk_i32 s7, 0x3b47
	s_mov_b32 s2, 0xbbeb
	s_mov_b32 s8, 0xb08e
	s_movk_i32 s12, 0x3beb
	s_mov_b32 s13, 0xba0c
	s_mov_b32 s14, 0xb93d
	s_movk_i32 s15, 0x3a0c
	s_mov_b32 s16, 0xb482
	s_movk_i32 s18, 0x3482
	s_waitcnt vmcnt(0)
	s_barrier
	v_mul_f16_sdwa v38, v6, v34 dst_sel:DWORD dst_unused:UNUSED_PAD src0_sel:WORD_1 src1_sel:DWORD
	v_mul_f16_sdwa v39, v6, v19 dst_sel:DWORD dst_unused:UNUSED_PAD src0_sel:WORD_1 src1_sel:DWORD
	;; [unrolled: 1-line block ×4, first 2 shown]
	v_mul_f16_sdwa v46, v28, v10 dst_sel:DWORD dst_unused:UNUSED_PAD src0_sel:DWORD src1_sel:WORD_1
	v_mul_f16_sdwa v47, v10, v17 dst_sel:DWORD dst_unused:UNUSED_PAD src0_sel:WORD_1 src1_sel:DWORD
	v_mul_f16_sdwa v48, v29, v11 dst_sel:DWORD dst_unused:UNUSED_PAD src0_sel:DWORD src1_sel:WORD_1
	v_mul_f16_sdwa v49, v18, v11 dst_sel:DWORD dst_unused:UNUSED_PAD src0_sel:DWORD src1_sel:WORD_1
	v_fma_f16 v19, v6, v19, v38
	v_fma_f16 v6, v6, v34, -v39
	v_mul_f16_sdwa v42, v8, v36 dst_sel:DWORD dst_unused:UNUSED_PAD src0_sel:WORD_1 src1_sel:DWORD
	v_mul_f16_sdwa v43, v8, v21 dst_sel:DWORD dst_unused:UNUSED_PAD src0_sel:WORD_1 src1_sel:DWORD
	v_fma_f16 v20, v7, v20, v40
	v_fma_f16 v7, v7, v35, -v41
	v_fma_f16 v17, v10, v17, v46
	v_fma_f16 v10, v28, v10, -v47
	;; [unrolled: 2-line block ×3, first 2 shown]
	v_add_f16_e32 v28, v19, v27
	v_add_f16_sdwa v29, v6, v27 dst_sel:DWORD dst_unused:UNUSED_PAD src0_sel:DWORD src1_sel:WORD_1
	v_mul_f16_sdwa v44, v9, v37 dst_sel:DWORD dst_unused:UNUSED_PAD src0_sel:WORD_1 src1_sel:DWORD
	v_mul_f16_sdwa v45, v9, v22 dst_sel:DWORD dst_unused:UNUSED_PAD src0_sel:WORD_1 src1_sel:DWORD
	v_fma_f16 v21, v8, v21, v42
	v_fma_f16 v8, v8, v36, -v43
	v_add_f16_e32 v28, v28, v20
	v_add_f16_e32 v29, v29, v7
	v_fma_f16 v22, v9, v22, v44
	v_fma_f16 v9, v9, v37, -v45
	v_add_f16_e32 v28, v28, v21
	v_add_f16_e32 v29, v29, v8
	;; [unrolled: 1-line block ×4, first 2 shown]
	v_mul_f16_sdwa v50, v30, v12 dst_sel:DWORD dst_unused:UNUSED_PAD src0_sel:DWORD src1_sel:WORD_1
	v_mul_f16_sdwa v51, v23, v12 dst_sel:DWORD dst_unused:UNUSED_PAD src0_sel:DWORD src1_sel:WORD_1
	v_add_f16_e32 v28, v28, v17
	v_add_f16_e32 v29, v29, v10
	v_mul_f16_sdwa v52, v31, v13 dst_sel:DWORD dst_unused:UNUSED_PAD src0_sel:DWORD src1_sel:WORD_1
	v_mul_f16_sdwa v53, v24, v13 dst_sel:DWORD dst_unused:UNUSED_PAD src0_sel:DWORD src1_sel:WORD_1
	;; [unrolled: 1-line block ×4, first 2 shown]
	v_fma_f16 v23, v23, v12, v50
	v_fma_f16 v12, v30, v12, -v51
	v_add_f16_e32 v28, v28, v18
	v_add_f16_e32 v29, v29, v11
	v_mul_f16_sdwa v54, v32, v14 dst_sel:DWORD dst_unused:UNUSED_PAD src0_sel:DWORD src1_sel:WORD_1
	v_mul_f16_sdwa v55, v25, v14 dst_sel:DWORD dst_unused:UNUSED_PAD src0_sel:DWORD src1_sel:WORD_1
	v_fma_f16 v24, v24, v13, v52
	v_fma_f16 v13, v31, v13, -v53
	v_fma_f16 v26, v26, v15, v56
	v_fma_f16 v15, v33, v15, -v57
	v_add_f16_e32 v28, v28, v23
	v_add_f16_e32 v29, v29, v12
	v_fma_f16 v25, v25, v14, v54
	v_fma_f16 v14, v32, v14, -v55
	v_add_f16_e32 v31, v6, v15
	v_sub_f16_e32 v6, v6, v15
	v_add_f16_e32 v28, v28, v24
	v_add_f16_e32 v29, v29, v13
	;; [unrolled: 1-line block ×3, first 2 shown]
	v_sub_f16_e32 v19, v19, v26
	v_mul_f16_e32 v32, 0xb853, v6
	v_mul_f16_e32 v33, 0x3abb, v31
	v_add_f16_e32 v28, v28, v25
	v_add_f16_e32 v29, v29, v14
	v_fma_f16 v34, v30, s1, v32
	v_add_f16_e32 v26, v28, v26
	v_add_f16_e32 v15, v29, v15
	v_fma_f16 v28, v19, s9, v33
	v_fma_f16 v29, v30, s1, -v32
	v_fma_f16 v32, v19, s0, v33
	v_mul_f16_e32 v33, 0xbb47, v6
	v_mul_f16_e32 v36, 0x36a6, v31
	;; [unrolled: 1-line block ×8, first 2 shown]
	v_fma_f16 v35, v30, s6, v33
	v_fma_f16 v37, v19, s7, v36
	v_fma_f16 v33, v30, s6, -v33
	v_fma_f16 v36, v19, s3, v36
	v_fma_f16 v39, v30, s8, v38
	v_fma_f16 v41, v19, s12, v40
	v_fma_f16 v38, v30, s8, -v38
	v_fma_f16 v40, v19, s2, v40
	;; [unrolled: 4-line block ×4, first 2 shown]
	v_add_f16_e32 v30, v7, v14
	v_sub_f16_e32 v7, v7, v14
	v_add_f16_e32 v34, v34, v27
	v_add_f16_sdwa v28, v28, v27 dst_sel:DWORD dst_unused:UNUSED_PAD src0_sel:DWORD src1_sel:WORD_1
	v_add_f16_e32 v29, v29, v27
	v_add_f16_sdwa v32, v32, v27 dst_sel:DWORD dst_unused:UNUSED_PAD src0_sel:DWORD src1_sel:WORD_1
	;; [unrolled: 2-line block ×10, first 2 shown]
	v_add_f16_e32 v27, v20, v25
	v_mul_f16_e32 v14, 0xbb47, v7
	v_sub_f16_e32 v20, v20, v25
	v_fma_f16 v25, v27, s6, v14
	v_mul_f16_e32 v31, 0x36a6, v30
	v_fma_f16 v14, v27, s6, -v14
	v_add_f16_e32 v25, v25, v34
	v_fma_f16 v34, v20, s7, v31
	v_add_f16_e32 v14, v14, v29
	v_fma_f16 v29, v20, s3, v31
	v_mul_f16_e32 v31, 0xba0c, v7
	v_add_f16_e32 v28, v34, v28
	v_add_f16_e32 v29, v29, v32
	v_fma_f16 v32, v27, s14, v31
	v_mul_f16_e32 v34, 0xb93d, v30
	v_fma_f16 v31, v27, s14, -v31
	v_add_f16_e32 v32, v32, v35
	v_fma_f16 v35, v20, s15, v34
	v_add_f16_e32 v31, v31, v33
	v_fma_f16 v33, v20, s13, v34
	v_mul_f16_e32 v34, 0x3482, v7
	v_add_f16_e32 v35, v35, v37
	v_add_f16_e32 v33, v33, v36
	;; [unrolled: 10-line block ×3, first 2 shown]
	v_fma_f16 v40, v27, s8, v38
	v_mul_f16_e32 v41, 0xb08e, v30
	v_fma_f16 v38, v27, s8, -v38
	v_mul_f16_e32 v7, 0x3853, v7
	v_add_f16_e32 v40, v40, v43
	v_fma_f16 v43, v20, s2, v41
	v_add_f16_e32 v38, v38, v42
	v_fma_f16 v41, v20, s12, v41
	v_fma_f16 v42, v27, s1, v7
	v_mul_f16_e32 v30, 0x3abb, v30
	v_fma_f16 v7, v27, s1, -v7
	v_add_f16_e32 v41, v41, v44
	v_fma_f16 v44, v20, s0, v30
	v_add_f16_e32 v6, v7, v6
	v_fma_f16 v7, v20, s9, v30
	v_add_f16_e32 v20, v8, v13
	v_sub_f16_e32 v8, v8, v13
	v_add_f16_e32 v7, v7, v19
	v_add_f16_e32 v19, v21, v24
	v_mul_f16_e32 v13, 0xbbeb, v8
	v_sub_f16_e32 v21, v21, v24
	v_fma_f16 v24, v19, s8, v13
	v_add_f16_e32 v24, v24, v25
	v_mul_f16_e32 v25, 0xb08e, v20
	v_fma_f16 v13, v19, s8, -v13
	v_fma_f16 v27, v21, s12, v25
	v_add_f16_e32 v13, v13, v14
	v_fma_f16 v14, v21, s2, v25
	v_mul_f16_e32 v25, 0x3482, v8
	v_add_f16_e32 v27, v27, v28
	v_fma_f16 v28, v19, s17, v25
	v_fma_f16 v25, v19, s17, -v25
	v_add_f16_e32 v14, v14, v29
	v_mul_f16_e32 v29, 0xbbad, v20
	v_add_f16_e32 v25, v25, v31
	v_mul_f16_e32 v31, 0x3b47, v8
	v_add_f16_e32 v28, v28, v32
	v_fma_f16 v30, v21, s16, v29
	v_fma_f16 v29, v21, s18, v29
	v_fma_f16 v32, v19, s6, v31
	v_fma_f16 v31, v19, s6, -v31
	v_add_f16_e32 v29, v29, v33
	v_mul_f16_e32 v33, 0x36a6, v20
	v_add_f16_e32 v31, v31, v34
	v_mul_f16_e32 v34, 0xb853, v8
	v_add_f16_e32 v30, v30, v35
	v_add_f16_e32 v32, v32, v36
	v_fma_f16 v35, v21, s3, v33
	v_fma_f16 v33, v21, s7, v33
	;; [unrolled: 1-line block ×3, first 2 shown]
	v_fma_f16 v34, v19, s1, -v34
	v_mul_f16_e32 v8, 0xba0c, v8
	v_add_f16_e32 v33, v33, v37
	v_mul_f16_e32 v37, 0x3abb, v20
	v_add_f16_e32 v34, v34, v38
	v_fma_f16 v38, v19, s14, v8
	v_mul_f16_e32 v20, 0xb93d, v20
	v_fma_f16 v8, v19, s14, -v8
	v_add_f16_e32 v6, v8, v6
	v_fma_f16 v8, v21, s13, v20
	v_add_f16_e32 v19, v9, v12
	v_sub_f16_e32 v9, v9, v12
	v_add_f16_e32 v7, v8, v7
	v_add_f16_e32 v8, v22, v23
	v_mul_f16_e32 v12, 0xba0c, v9
	v_add_f16_e32 v35, v35, v39
	v_add_f16_e32 v36, v36, v40
	v_fma_f16 v39, v21, s9, v37
	v_fma_f16 v37, v21, s0, v37
	v_fma_f16 v40, v21, s15, v20
	v_sub_f16_e32 v20, v22, v23
	v_fma_f16 v21, v8, s14, v12
	v_mul_f16_e32 v22, 0xb93d, v19
	v_fma_f16 v12, v8, s14, -v12
	v_add_f16_e32 v12, v12, v13
	v_fma_f16 v13, v20, s13, v22
	v_add_f16_e32 v13, v13, v14
	v_mul_f16_e32 v14, 0x3beb, v9
	v_fma_f16 v23, v20, s15, v22
	v_fma_f16 v22, v8, s8, v14
	v_fma_f16 v14, v8, s8, -v14
	v_add_f16_e32 v21, v21, v24
	v_mul_f16_e32 v24, 0xb08e, v19
	v_add_f16_e32 v14, v14, v25
	v_mul_f16_e32 v25, 0xb853, v9
	v_add_f16_e32 v23, v23, v27
	v_add_f16_e32 v22, v22, v28
	v_fma_f16 v27, v20, s2, v24
	v_fma_f16 v24, v20, s12, v24
	;; [unrolled: 1-line block ×3, first 2 shown]
	v_fma_f16 v25, v8, s1, -v25
	v_add_f16_e32 v24, v24, v29
	v_mul_f16_e32 v29, 0x3abb, v19
	v_add_f16_e32 v25, v25, v31
	v_mul_f16_e32 v31, 0xb482, v9
	v_add_f16_e32 v27, v27, v30
	v_add_f16_e32 v28, v28, v32
	v_fma_f16 v30, v20, s9, v29
	v_fma_f16 v29, v20, s0, v29
	;; [unrolled: 1-line block ×3, first 2 shown]
	v_fma_f16 v31, v8, s17, -v31
	v_mul_f16_e32 v9, 0x3b47, v9
	v_add_f16_e32 v29, v29, v33
	v_mul_f16_e32 v33, 0xbbad, v19
	v_add_f16_e32 v31, v31, v34
	v_fma_f16 v34, v8, s6, v9
	v_mul_f16_e32 v19, 0x36a6, v19
	v_fma_f16 v8, v8, s6, -v9
	v_add_f16_e32 v6, v8, v6
	v_fma_f16 v8, v20, s7, v19
	v_add_f16_e32 v9, v10, v11
	v_sub_f16_e32 v10, v10, v11
	v_add_f16_e32 v7, v8, v7
	v_add_f16_e32 v8, v17, v18
	v_mul_f16_e32 v11, 0xb482, v10
	v_add_f16_e32 v32, v32, v36
	v_fma_f16 v36, v20, s3, v19
	v_sub_f16_e32 v17, v17, v18
	v_fma_f16 v18, v8, s17, v11
	v_mul_f16_e32 v19, 0xbbad, v9
	v_fma_f16 v11, v8, s17, -v11
	v_add_f16_e32 v11, v11, v12
	v_fma_f16 v12, v17, s16, v19
	v_add_f16_e32 v12, v12, v13
	v_mul_f16_e32 v13, 0x3853, v10
	v_add_f16_e32 v30, v30, v35
	v_fma_f16 v35, v20, s18, v33
	v_fma_f16 v33, v20, s16, v33
	v_add_f16_e32 v18, v18, v21
	v_fma_f16 v20, v17, s18, v19
	v_fma_f16 v19, v8, s1, v13
	v_mul_f16_e32 v21, 0x3abb, v9
	v_fma_f16 v13, v8, s1, -v13
	v_add_f16_e32 v19, v19, v22
	v_fma_f16 v22, v17, s0, v21
	v_add_f16_e32 v13, v13, v14
	v_fma_f16 v14, v17, s9, v21
	v_mul_f16_e32 v21, 0xba0c, v10
	v_add_f16_e32 v20, v20, v23
	v_fma_f16 v23, v8, s14, v21
	v_fma_f16 v21, v8, s14, -v21
	v_add_f16_e32 v14, v14, v24
	v_mul_f16_e32 v24, 0xb93d, v9
	v_add_f16_e32 v21, v21, v25
	v_mul_f16_e32 v25, 0x3b47, v10
	v_add_f16_e32 v22, v22, v27
	v_add_f16_e32 v23, v23, v28
	v_fma_f16 v27, v17, s15, v24
	v_fma_f16 v24, v17, s13, v24
	;; [unrolled: 1-line block ×3, first 2 shown]
	v_fma_f16 v25, v8, s6, -v25
	v_mul_f16_e32 v10, 0xbbeb, v10
	v_add_f16_e32 v37, v37, v41
	v_add_f16_e32 v24, v24, v29
	v_mul_f16_e32 v29, 0x36a6, v9
	v_add_f16_e32 v25, v25, v31
	v_fma_f16 v31, v8, s8, v10
	v_mul_f16_e32 v9, 0xb08e, v9
	v_fma_f16 v8, v8, s8, -v10
	v_add_f16_e32 v43, v43, v45
	v_add_f16_e32 v42, v42, v46
	v_add_f16_e32 v44, v44, v47
	v_add_f16_e32 v33, v33, v37
	v_add_f16_e32 v27, v27, v30
	v_fma_f16 v30, v17, s3, v29
	v_fma_f16 v29, v17, s7, v29
	v_add_f16_e32 v6, v8, v6
	v_fma_f16 v8, v17, s2, v9
	v_add_f16_e32 v39, v39, v43
	v_add_f16_e32 v38, v38, v42
	;; [unrolled: 1-line block ×9, first 2 shown]
	v_fma_f16 v32, v17, s12, v9
	v_pack_b32_f16 v8, v26, v15
	v_pack_b32_f16 v9, v18, v20
	;; [unrolled: 1-line block ×4, first 2 shown]
	v_add_f16_e32 v30, v30, v35
	v_add_f16_e32 v31, v31, v34
	;; [unrolled: 1-line block ×3, first 2 shown]
	ds_write2_b32 v16, v8, v9 offset1:22
	v_pack_b32_f16 v8, v19, v22
	v_pack_b32_f16 v9, v23, v27
	ds_write2_b32 v16, v6, v7 offset0:132 offset1:154
	v_pack_b32_f16 v6, v21, v24
	v_pack_b32_f16 v7, v13, v14
	ds_write2_b32 v16, v8, v9 offset0:44 offset1:66
	;; [unrolled: 3-line block ×3, first 2 shown]
	v_pack_b32_f16 v6, v11, v12
	ds_write2_b32 v16, v8, v9 offset0:88 offset1:110
	ds_write_b32 v16, v6 offset:880
	s_waitcnt lgkmcnt(0)
	s_barrier
	s_and_saveexec_b64 s[0:1], vcc
	s_cbranch_execz .LBB0_26
; %bb.25:
	v_mul_lo_u32 v6, s5, v3
	v_mul_lo_u32 v7, s4, v4
	v_mad_u64_u32 v[3:4], s[0:1], s4, v3, 0
	v_lshl_add_u32 v9, v5, 2, v0
	v_mov_b32_e32 v0, s11
	v_add3_u32 v4, v4, v7, v6
	v_lshlrev_b64 v[3:4], 2, v[3:4]
	v_mov_b32_e32 v6, 0
	v_add_co_u32_e32 v3, vcc, s10, v3
	v_addc_co_u32_e32 v4, vcc, v0, v4, vcc
	v_lshlrev_b64 v[0:1], 2, v[1:2]
	ds_read2_b32 v[7:8], v9 offset1:22
	v_add_co_u32_e32 v10, vcc, v3, v0
	v_addc_co_u32_e32 v4, vcc, v4, v1, vcc
	v_lshlrev_b64 v[0:1], 2, v[5:6]
	ds_read2_b32 v[2:3], v9 offset0:44 offset1:66
	v_add_co_u32_e32 v0, vcc, v10, v0
	v_addc_co_u32_e32 v1, vcc, v4, v1, vcc
	s_waitcnt lgkmcnt(1)
	global_store_dword v[0:1], v7, off
	v_add_u32_e32 v0, 22, v5
	v_mov_b32_e32 v1, v6
	v_lshlrev_b64 v[0:1], 2, v[0:1]
	v_add_co_u32_e32 v0, vcc, v10, v0
	v_addc_co_u32_e32 v1, vcc, v4, v1, vcc
	global_store_dword v[0:1], v8, off
	v_add_u32_e32 v0, 44, v5
	v_mov_b32_e32 v1, v6
	v_lshlrev_b64 v[0:1], 2, v[0:1]
	v_add_co_u32_e32 v0, vcc, v10, v0
	v_addc_co_u32_e32 v1, vcc, v4, v1, vcc
	s_waitcnt lgkmcnt(0)
	global_store_dword v[0:1], v2, off
	v_add_u32_e32 v0, 0x42, v5
	v_mov_b32_e32 v1, v6
	v_lshlrev_b64 v[0:1], 2, v[0:1]
	v_add_co_u32_e32 v0, vcc, v10, v0
	v_addc_co_u32_e32 v1, vcc, v4, v1, vcc
	global_store_dword v[0:1], v3, off
	v_add_u32_e32 v0, 0x58, v5
	v_mov_b32_e32 v1, v6
	ds_read2_b32 v[2:3], v9 offset0:88 offset1:110
	v_lshlrev_b64 v[0:1], 2, v[0:1]
	v_add_co_u32_e32 v0, vcc, v10, v0
	v_addc_co_u32_e32 v1, vcc, v4, v1, vcc
	s_waitcnt lgkmcnt(0)
	global_store_dword v[0:1], v2, off
	v_add_u32_e32 v0, 0x6e, v5
	v_mov_b32_e32 v1, v6
	v_lshlrev_b64 v[0:1], 2, v[0:1]
	v_add_co_u32_e32 v0, vcc, v10, v0
	v_addc_co_u32_e32 v1, vcc, v4, v1, vcc
	global_store_dword v[0:1], v3, off
	v_add_u32_e32 v0, 0x84, v5
	v_mov_b32_e32 v1, v6
	ds_read2_b32 v[2:3], v9 offset0:132 offset1:154
	;; [unrolled: 14-line block ×3, first 2 shown]
	v_lshlrev_b64 v[0:1], 2, v[0:1]
	v_add_co_u32_e32 v0, vcc, v10, v0
	v_addc_co_u32_e32 v1, vcc, v4, v1, vcc
	s_waitcnt lgkmcnt(0)
	global_store_dword v[0:1], v2, off
	v_add_u32_e32 v0, 0xc6, v5
	v_mov_b32_e32 v1, v6
	v_lshlrev_b64 v[0:1], 2, v[0:1]
	v_add_u32_e32 v5, 0xdc, v5
	v_add_co_u32_e32 v0, vcc, v10, v0
	v_addc_co_u32_e32 v1, vcc, v4, v1, vcc
	ds_read_b32 v2, v9 offset:880
	global_store_dword v[0:1], v3, off
	v_lshlrev_b64 v[0:1], 2, v[5:6]
	v_add_co_u32_e32 v0, vcc, v10, v0
	v_addc_co_u32_e32 v1, vcc, v4, v1, vcc
	s_waitcnt lgkmcnt(0)
	global_store_dword v[0:1], v2, off
.LBB0_26:
	s_endpgm
	.section	.rodata,"a",@progbits
	.p2align	6, 0x0
	.amdhsa_kernel fft_rtc_back_len242_factors_11_2_11_wgs_110_tpt_22_half_op_CI_CI_unitstride_sbrr_C2R_dirReg
		.amdhsa_group_segment_fixed_size 0
		.amdhsa_private_segment_fixed_size 0
		.amdhsa_kernarg_size 104
		.amdhsa_user_sgpr_count 6
		.amdhsa_user_sgpr_private_segment_buffer 1
		.amdhsa_user_sgpr_dispatch_ptr 0
		.amdhsa_user_sgpr_queue_ptr 0
		.amdhsa_user_sgpr_kernarg_segment_ptr 1
		.amdhsa_user_sgpr_dispatch_id 0
		.amdhsa_user_sgpr_flat_scratch_init 0
		.amdhsa_user_sgpr_private_segment_size 0
		.amdhsa_uses_dynamic_stack 0
		.amdhsa_system_sgpr_private_segment_wavefront_offset 0
		.amdhsa_system_sgpr_workgroup_id_x 1
		.amdhsa_system_sgpr_workgroup_id_y 0
		.amdhsa_system_sgpr_workgroup_id_z 0
		.amdhsa_system_sgpr_workgroup_info 0
		.amdhsa_system_vgpr_workitem_id 0
		.amdhsa_next_free_vgpr 58
		.amdhsa_next_free_sgpr 28
		.amdhsa_reserve_vcc 1
		.amdhsa_reserve_flat_scratch 0
		.amdhsa_float_round_mode_32 0
		.amdhsa_float_round_mode_16_64 0
		.amdhsa_float_denorm_mode_32 3
		.amdhsa_float_denorm_mode_16_64 3
		.amdhsa_dx10_clamp 1
		.amdhsa_ieee_mode 1
		.amdhsa_fp16_overflow 0
		.amdhsa_exception_fp_ieee_invalid_op 0
		.amdhsa_exception_fp_denorm_src 0
		.amdhsa_exception_fp_ieee_div_zero 0
		.amdhsa_exception_fp_ieee_overflow 0
		.amdhsa_exception_fp_ieee_underflow 0
		.amdhsa_exception_fp_ieee_inexact 0
		.amdhsa_exception_int_div_zero 0
	.end_amdhsa_kernel
	.text
.Lfunc_end0:
	.size	fft_rtc_back_len242_factors_11_2_11_wgs_110_tpt_22_half_op_CI_CI_unitstride_sbrr_C2R_dirReg, .Lfunc_end0-fft_rtc_back_len242_factors_11_2_11_wgs_110_tpt_22_half_op_CI_CI_unitstride_sbrr_C2R_dirReg
                                        ; -- End function
	.section	.AMDGPU.csdata,"",@progbits
; Kernel info:
; codeLenInByte = 8832
; NumSgprs: 32
; NumVgprs: 58
; ScratchSize: 0
; MemoryBound: 0
; FloatMode: 240
; IeeeMode: 1
; LDSByteSize: 0 bytes/workgroup (compile time only)
; SGPRBlocks: 3
; VGPRBlocks: 14
; NumSGPRsForWavesPerEU: 32
; NumVGPRsForWavesPerEU: 58
; Occupancy: 4
; WaveLimiterHint : 1
; COMPUTE_PGM_RSRC2:SCRATCH_EN: 0
; COMPUTE_PGM_RSRC2:USER_SGPR: 6
; COMPUTE_PGM_RSRC2:TRAP_HANDLER: 0
; COMPUTE_PGM_RSRC2:TGID_X_EN: 1
; COMPUTE_PGM_RSRC2:TGID_Y_EN: 0
; COMPUTE_PGM_RSRC2:TGID_Z_EN: 0
; COMPUTE_PGM_RSRC2:TIDIG_COMP_CNT: 0
	.type	__hip_cuid_e439d442e601329a,@object ; @__hip_cuid_e439d442e601329a
	.section	.bss,"aw",@nobits
	.globl	__hip_cuid_e439d442e601329a
__hip_cuid_e439d442e601329a:
	.byte	0                               ; 0x0
	.size	__hip_cuid_e439d442e601329a, 1

	.ident	"AMD clang version 19.0.0git (https://github.com/RadeonOpenCompute/llvm-project roc-6.4.0 25133 c7fe45cf4b819c5991fe208aaa96edf142730f1d)"
	.section	".note.GNU-stack","",@progbits
	.addrsig
	.addrsig_sym __hip_cuid_e439d442e601329a
	.amdgpu_metadata
---
amdhsa.kernels:
  - .args:
      - .actual_access:  read_only
        .address_space:  global
        .offset:         0
        .size:           8
        .value_kind:     global_buffer
      - .offset:         8
        .size:           8
        .value_kind:     by_value
      - .actual_access:  read_only
        .address_space:  global
        .offset:         16
        .size:           8
        .value_kind:     global_buffer
      - .actual_access:  read_only
        .address_space:  global
        .offset:         24
        .size:           8
        .value_kind:     global_buffer
      - .actual_access:  read_only
        .address_space:  global
        .offset:         32
        .size:           8
        .value_kind:     global_buffer
      - .offset:         40
        .size:           8
        .value_kind:     by_value
      - .actual_access:  read_only
        .address_space:  global
        .offset:         48
        .size:           8
        .value_kind:     global_buffer
      - .actual_access:  read_only
        .address_space:  global
        .offset:         56
        .size:           8
        .value_kind:     global_buffer
      - .offset:         64
        .size:           4
        .value_kind:     by_value
      - .actual_access:  read_only
        .address_space:  global
        .offset:         72
        .size:           8
        .value_kind:     global_buffer
      - .actual_access:  read_only
        .address_space:  global
        .offset:         80
        .size:           8
        .value_kind:     global_buffer
      - .actual_access:  read_only
        .address_space:  global
        .offset:         88
        .size:           8
        .value_kind:     global_buffer
      - .actual_access:  write_only
        .address_space:  global
        .offset:         96
        .size:           8
        .value_kind:     global_buffer
    .group_segment_fixed_size: 0
    .kernarg_segment_align: 8
    .kernarg_segment_size: 104
    .language:       OpenCL C
    .language_version:
      - 2
      - 0
    .max_flat_workgroup_size: 110
    .name:           fft_rtc_back_len242_factors_11_2_11_wgs_110_tpt_22_half_op_CI_CI_unitstride_sbrr_C2R_dirReg
    .private_segment_fixed_size: 0
    .sgpr_count:     32
    .sgpr_spill_count: 0
    .symbol:         fft_rtc_back_len242_factors_11_2_11_wgs_110_tpt_22_half_op_CI_CI_unitstride_sbrr_C2R_dirReg.kd
    .uniform_work_group_size: 1
    .uses_dynamic_stack: false
    .vgpr_count:     58
    .vgpr_spill_count: 0
    .wavefront_size: 64
amdhsa.target:   amdgcn-amd-amdhsa--gfx906
amdhsa.version:
  - 1
  - 2
...

	.end_amdgpu_metadata
